;; amdgpu-corpus repo=ROCm/rocFFT kind=compiled arch=gfx1201 opt=O3
	.text
	.amdgcn_target "amdgcn-amd-amdhsa--gfx1201"
	.amdhsa_code_object_version 6
	.protected	fft_rtc_back_len208_factors_13_16_wgs_64_tpt_16_halfLds_dp_op_CI_CI_unitstride_sbrr_R2C_dirReg ; -- Begin function fft_rtc_back_len208_factors_13_16_wgs_64_tpt_16_halfLds_dp_op_CI_CI_unitstride_sbrr_R2C_dirReg
	.globl	fft_rtc_back_len208_factors_13_16_wgs_64_tpt_16_halfLds_dp_op_CI_CI_unitstride_sbrr_R2C_dirReg
	.p2align	8
	.type	fft_rtc_back_len208_factors_13_16_wgs_64_tpt_16_halfLds_dp_op_CI_CI_unitstride_sbrr_R2C_dirReg,@function
fft_rtc_back_len208_factors_13_16_wgs_64_tpt_16_halfLds_dp_op_CI_CI_unitstride_sbrr_R2C_dirReg: ; @fft_rtc_back_len208_factors_13_16_wgs_64_tpt_16_halfLds_dp_op_CI_CI_unitstride_sbrr_R2C_dirReg
; %bb.0:
	s_clause 0x2
	s_load_b128 s[8:11], s[0:1], 0x0
	s_load_b128 s[4:7], s[0:1], 0x58
	;; [unrolled: 1-line block ×3, first 2 shown]
	v_lshrrev_b32_e32 v7, 4, v0
	v_mov_b32_e32 v3, 0
	v_mov_b32_e32 v1, 0
	;; [unrolled: 1-line block ×3, first 2 shown]
	s_delay_alu instid0(VALU_DEP_4) | instskip(NEXT) | instid1(VALU_DEP_4)
	v_lshl_or_b32 v5, ttmp9, 2, v7
	v_mov_b32_e32 v6, v3
	s_wait_kmcnt 0x0
	v_cmp_lt_u64_e64 s2, s[10:11], 2
	s_delay_alu instid0(VALU_DEP_1)
	s_and_b32 vcc_lo, exec_lo, s2
	s_cbranch_vccnz .LBB0_8
; %bb.1:
	s_load_b64 s[2:3], s[0:1], 0x10
	v_mov_b32_e32 v1, 0
	v_mov_b32_e32 v2, 0
	s_add_nc_u64 s[16:17], s[14:15], 8
	s_add_nc_u64 s[18:19], s[12:13], 8
	s_mov_b64 s[20:21], 1
	s_delay_alu instid0(VALU_DEP_1)
	v_dual_mov_b32 v65, v2 :: v_dual_mov_b32 v64, v1
	s_wait_kmcnt 0x0
	s_add_nc_u64 s[22:23], s[2:3], 8
	s_mov_b32 s3, 0
.LBB0_2:                                ; =>This Inner Loop Header: Depth=1
	s_load_b64 s[24:25], s[22:23], 0x0
                                        ; implicit-def: $vgpr68_vgpr69
	s_mov_b32 s2, exec_lo
	s_wait_kmcnt 0x0
	v_or_b32_e32 v4, s25, v6
	s_delay_alu instid0(VALU_DEP_1)
	v_cmpx_ne_u64_e32 0, v[3:4]
	s_wait_alu 0xfffe
	s_xor_b32 s26, exec_lo, s2
	s_cbranch_execz .LBB0_4
; %bb.3:                                ;   in Loop: Header=BB0_2 Depth=1
	s_cvt_f32_u32 s2, s24
	s_cvt_f32_u32 s27, s25
	s_sub_nc_u64 s[30:31], 0, s[24:25]
	s_wait_alu 0xfffe
	s_delay_alu instid0(SALU_CYCLE_1) | instskip(SKIP_1) | instid1(SALU_CYCLE_2)
	s_fmamk_f32 s2, s27, 0x4f800000, s2
	s_wait_alu 0xfffe
	v_s_rcp_f32 s2, s2
	s_delay_alu instid0(TRANS32_DEP_1) | instskip(SKIP_1) | instid1(SALU_CYCLE_2)
	s_mul_f32 s2, s2, 0x5f7ffffc
	s_wait_alu 0xfffe
	s_mul_f32 s27, s2, 0x2f800000
	s_wait_alu 0xfffe
	s_delay_alu instid0(SALU_CYCLE_2) | instskip(SKIP_1) | instid1(SALU_CYCLE_2)
	s_trunc_f32 s27, s27
	s_wait_alu 0xfffe
	s_fmamk_f32 s2, s27, 0xcf800000, s2
	s_cvt_u32_f32 s29, s27
	s_wait_alu 0xfffe
	s_delay_alu instid0(SALU_CYCLE_1) | instskip(SKIP_1) | instid1(SALU_CYCLE_2)
	s_cvt_u32_f32 s28, s2
	s_wait_alu 0xfffe
	s_mul_u64 s[34:35], s[30:31], s[28:29]
	s_wait_alu 0xfffe
	s_mul_hi_u32 s37, s28, s35
	s_mul_i32 s36, s28, s35
	s_mul_hi_u32 s2, s28, s34
	s_mul_i32 s33, s29, s34
	s_wait_alu 0xfffe
	s_add_nc_u64 s[36:37], s[2:3], s[36:37]
	s_mul_hi_u32 s27, s29, s34
	s_mul_hi_u32 s38, s29, s35
	s_add_co_u32 s2, s36, s33
	s_wait_alu 0xfffe
	s_add_co_ci_u32 s2, s37, s27
	s_mul_i32 s34, s29, s35
	s_add_co_ci_u32 s35, s38, 0
	s_wait_alu 0xfffe
	s_add_nc_u64 s[34:35], s[2:3], s[34:35]
	s_wait_alu 0xfffe
	v_add_co_u32 v4, s2, s28, s34
	s_delay_alu instid0(VALU_DEP_1) | instskip(SKIP_1) | instid1(VALU_DEP_1)
	s_cmp_lg_u32 s2, 0
	s_add_co_ci_u32 s29, s29, s35
	v_readfirstlane_b32 s28, v4
	s_wait_alu 0xfffe
	s_delay_alu instid0(VALU_DEP_1)
	s_mul_u64 s[30:31], s[30:31], s[28:29]
	s_wait_alu 0xfffe
	s_mul_hi_u32 s35, s28, s31
	s_mul_i32 s34, s28, s31
	s_mul_hi_u32 s2, s28, s30
	s_mul_i32 s33, s29, s30
	s_wait_alu 0xfffe
	s_add_nc_u64 s[34:35], s[2:3], s[34:35]
	s_mul_hi_u32 s27, s29, s30
	s_mul_hi_u32 s28, s29, s31
	s_wait_alu 0xfffe
	s_add_co_u32 s2, s34, s33
	s_add_co_ci_u32 s2, s35, s27
	s_mul_i32 s30, s29, s31
	s_add_co_ci_u32 s31, s28, 0
	s_wait_alu 0xfffe
	s_add_nc_u64 s[30:31], s[2:3], s[30:31]
	s_wait_alu 0xfffe
	v_add_co_u32 v4, s2, v4, s30
	s_delay_alu instid0(VALU_DEP_1) | instskip(SKIP_1) | instid1(VALU_DEP_1)
	s_cmp_lg_u32 s2, 0
	s_add_co_ci_u32 s2, s29, s31
	v_mul_hi_u32 v14, v5, v4
	s_wait_alu 0xfffe
	v_mad_co_u64_u32 v[8:9], null, v5, s2, 0
	v_mad_co_u64_u32 v[10:11], null, v6, v4, 0
	;; [unrolled: 1-line block ×3, first 2 shown]
	s_delay_alu instid0(VALU_DEP_3) | instskip(SKIP_1) | instid1(VALU_DEP_4)
	v_add_co_u32 v4, vcc_lo, v14, v8
	s_wait_alu 0xfffd
	v_add_co_ci_u32_e32 v8, vcc_lo, 0, v9, vcc_lo
	s_delay_alu instid0(VALU_DEP_2) | instskip(SKIP_1) | instid1(VALU_DEP_2)
	v_add_co_u32 v4, vcc_lo, v4, v10
	s_wait_alu 0xfffd
	v_add_co_ci_u32_e32 v4, vcc_lo, v8, v11, vcc_lo
	s_wait_alu 0xfffd
	v_add_co_ci_u32_e32 v8, vcc_lo, 0, v13, vcc_lo
	s_delay_alu instid0(VALU_DEP_2) | instskip(SKIP_1) | instid1(VALU_DEP_2)
	v_add_co_u32 v4, vcc_lo, v4, v12
	s_wait_alu 0xfffd
	v_add_co_ci_u32_e32 v10, vcc_lo, 0, v8, vcc_lo
	s_delay_alu instid0(VALU_DEP_2) | instskip(SKIP_1) | instid1(VALU_DEP_3)
	v_mul_lo_u32 v11, s25, v4
	v_mad_co_u64_u32 v[8:9], null, s24, v4, 0
	v_mul_lo_u32 v12, s24, v10
	s_delay_alu instid0(VALU_DEP_2) | instskip(NEXT) | instid1(VALU_DEP_2)
	v_sub_co_u32 v8, vcc_lo, v5, v8
	v_add3_u32 v9, v9, v12, v11
	s_delay_alu instid0(VALU_DEP_1) | instskip(SKIP_1) | instid1(VALU_DEP_1)
	v_sub_nc_u32_e32 v11, v6, v9
	s_wait_alu 0xfffd
	v_subrev_co_ci_u32_e64 v11, s2, s25, v11, vcc_lo
	v_add_co_u32 v12, s2, v4, 2
	s_wait_alu 0xf1ff
	v_add_co_ci_u32_e64 v13, s2, 0, v10, s2
	v_sub_co_u32 v14, s2, v8, s24
	v_sub_co_ci_u32_e32 v9, vcc_lo, v6, v9, vcc_lo
	s_wait_alu 0xf1ff
	v_subrev_co_ci_u32_e64 v11, s2, 0, v11, s2
	s_delay_alu instid0(VALU_DEP_3) | instskip(NEXT) | instid1(VALU_DEP_3)
	v_cmp_le_u32_e32 vcc_lo, s24, v14
	v_cmp_eq_u32_e64 s2, s25, v9
	s_wait_alu 0xfffd
	v_cndmask_b32_e64 v14, 0, -1, vcc_lo
	v_cmp_le_u32_e32 vcc_lo, s25, v11
	s_wait_alu 0xfffd
	v_cndmask_b32_e64 v15, 0, -1, vcc_lo
	v_cmp_le_u32_e32 vcc_lo, s24, v8
	;; [unrolled: 3-line block ×3, first 2 shown]
	s_wait_alu 0xfffd
	v_cndmask_b32_e64 v16, 0, -1, vcc_lo
	v_cmp_eq_u32_e32 vcc_lo, s25, v11
	s_wait_alu 0xf1ff
	s_delay_alu instid0(VALU_DEP_2)
	v_cndmask_b32_e64 v8, v16, v8, s2
	s_wait_alu 0xfffd
	v_cndmask_b32_e32 v11, v15, v14, vcc_lo
	v_add_co_u32 v14, vcc_lo, v4, 1
	s_wait_alu 0xfffd
	v_add_co_ci_u32_e32 v15, vcc_lo, 0, v10, vcc_lo
	s_delay_alu instid0(VALU_DEP_3) | instskip(SKIP_2) | instid1(VALU_DEP_3)
	v_cmp_ne_u32_e32 vcc_lo, 0, v11
	s_wait_alu 0xfffd
	v_cndmask_b32_e32 v11, v14, v12, vcc_lo
	v_cndmask_b32_e32 v9, v15, v13, vcc_lo
	v_cmp_ne_u32_e32 vcc_lo, 0, v8
	s_wait_alu 0xfffd
	s_delay_alu instid0(VALU_DEP_2)
	v_dual_cndmask_b32 v68, v4, v11 :: v_dual_cndmask_b32 v69, v10, v9
.LBB0_4:                                ;   in Loop: Header=BB0_2 Depth=1
	s_wait_alu 0xfffe
	s_and_not1_saveexec_b32 s2, s26
	s_cbranch_execz .LBB0_6
; %bb.5:                                ;   in Loop: Header=BB0_2 Depth=1
	v_cvt_f32_u32_e32 v4, s24
	s_sub_co_i32 s26, 0, s24
	v_mov_b32_e32 v69, v3
	s_delay_alu instid0(VALU_DEP_2) | instskip(NEXT) | instid1(TRANS32_DEP_1)
	v_rcp_iflag_f32_e32 v4, v4
	v_mul_f32_e32 v4, 0x4f7ffffe, v4
	s_delay_alu instid0(VALU_DEP_1) | instskip(SKIP_1) | instid1(VALU_DEP_1)
	v_cvt_u32_f32_e32 v4, v4
	s_wait_alu 0xfffe
	v_mul_lo_u32 v8, s26, v4
	s_delay_alu instid0(VALU_DEP_1) | instskip(NEXT) | instid1(VALU_DEP_1)
	v_mul_hi_u32 v8, v4, v8
	v_add_nc_u32_e32 v4, v4, v8
	s_delay_alu instid0(VALU_DEP_1) | instskip(NEXT) | instid1(VALU_DEP_1)
	v_mul_hi_u32 v4, v5, v4
	v_mul_lo_u32 v8, v4, s24
	s_delay_alu instid0(VALU_DEP_1) | instskip(NEXT) | instid1(VALU_DEP_1)
	v_sub_nc_u32_e32 v8, v5, v8
	v_subrev_nc_u32_e32 v10, s24, v8
	v_cmp_le_u32_e32 vcc_lo, s24, v8
	s_wait_alu 0xfffd
	s_delay_alu instid0(VALU_DEP_2) | instskip(NEXT) | instid1(VALU_DEP_1)
	v_dual_cndmask_b32 v8, v8, v10 :: v_dual_add_nc_u32 v9, 1, v4
	v_cndmask_b32_e32 v4, v4, v9, vcc_lo
	s_delay_alu instid0(VALU_DEP_2) | instskip(NEXT) | instid1(VALU_DEP_2)
	v_cmp_le_u32_e32 vcc_lo, s24, v8
	v_add_nc_u32_e32 v9, 1, v4
	s_wait_alu 0xfffd
	s_delay_alu instid0(VALU_DEP_1)
	v_cndmask_b32_e32 v68, v4, v9, vcc_lo
.LBB0_6:                                ;   in Loop: Header=BB0_2 Depth=1
	s_wait_alu 0xfffe
	s_or_b32 exec_lo, exec_lo, s2
	v_mul_lo_u32 v4, v69, s24
	s_delay_alu instid0(VALU_DEP_2)
	v_mul_lo_u32 v10, v68, s25
	s_load_b64 s[26:27], s[18:19], 0x0
	v_mad_co_u64_u32 v[8:9], null, v68, s24, 0
	s_load_b64 s[24:25], s[16:17], 0x0
	s_add_nc_u64 s[20:21], s[20:21], 1
	s_add_nc_u64 s[16:17], s[16:17], 8
	s_wait_alu 0xfffe
	v_cmp_ge_u64_e64 s2, s[20:21], s[10:11]
	s_add_nc_u64 s[18:19], s[18:19], 8
	s_add_nc_u64 s[22:23], s[22:23], 8
	v_add3_u32 v4, v9, v10, v4
	v_sub_co_u32 v5, vcc_lo, v5, v8
	s_wait_alu 0xfffd
	s_delay_alu instid0(VALU_DEP_2) | instskip(SKIP_2) | instid1(VALU_DEP_1)
	v_sub_co_ci_u32_e32 v4, vcc_lo, v6, v4, vcc_lo
	s_and_b32 vcc_lo, exec_lo, s2
	s_wait_kmcnt 0x0
	v_mul_lo_u32 v6, s26, v4
	v_mul_lo_u32 v8, s27, v5
	v_mad_co_u64_u32 v[1:2], null, s26, v5, v[1:2]
	v_mul_lo_u32 v4, s24, v4
	v_mul_lo_u32 v9, s25, v5
	v_mad_co_u64_u32 v[64:65], null, s24, v5, v[64:65]
	s_delay_alu instid0(VALU_DEP_4) | instskip(NEXT) | instid1(VALU_DEP_2)
	v_add3_u32 v2, v8, v2, v6
	v_add3_u32 v65, v9, v65, v4
	s_wait_alu 0xfffe
	s_cbranch_vccnz .LBB0_9
; %bb.7:                                ;   in Loop: Header=BB0_2 Depth=1
	v_dual_mov_b32 v5, v68 :: v_dual_mov_b32 v6, v69
	s_branch .LBB0_2
.LBB0_8:
	v_dual_mov_b32 v65, v2 :: v_dual_mov_b32 v64, v1
	v_dual_mov_b32 v69, v6 :: v_dual_mov_b32 v68, v5
.LBB0_9:
	s_load_b64 s[0:1], s[0:1], 0x28
	v_and_b32_e32 v66, 15, v0
	s_lshl_b64 s[10:11], s[10:11], 3
	s_wait_kmcnt 0x0
	v_cmp_gt_u64_e32 vcc_lo, s[0:1], v[68:69]
	v_cmp_le_u64_e64 s0, s[0:1], v[68:69]
	s_delay_alu instid0(VALU_DEP_1)
	s_and_saveexec_b32 s1, s0
	s_wait_alu 0xfffe
	s_xor_b32 s0, exec_lo, s1
; %bb.10:
	v_and_b32_e32 v66, 15, v0
                                        ; implicit-def: $vgpr1_vgpr2
; %bb.11:
	s_wait_alu 0xfffe
	s_or_saveexec_b32 s1, s0
	v_mul_u32_u24_e32 v0, 0xd1, v7
	s_add_nc_u64 s[2:3], s[14:15], s[10:11]
	s_delay_alu instid0(VALU_DEP_1)
	v_lshlrev_b32_e32 v0, 4, v0
	s_wait_alu 0xfffe
	s_xor_b32 exec_lo, exec_lo, s1
	s_cbranch_execz .LBB0_13
; %bb.12:
	s_add_nc_u64 s[10:11], s[12:13], s[10:11]
	v_lshlrev_b64_e32 v[1:2], 4, v[1:2]
	s_load_b64 s[10:11], s[10:11], 0x0
	v_lshlrev_b32_e32 v53, 4, v66
	s_wait_kmcnt 0x0
	v_mul_lo_u32 v5, s11, v68
	v_mul_lo_u32 v6, s10, v69
	v_mad_co_u64_u32 v[3:4], null, s10, v68, 0
	s_delay_alu instid0(VALU_DEP_1) | instskip(NEXT) | instid1(VALU_DEP_1)
	v_add3_u32 v4, v4, v6, v5
	v_lshlrev_b64_e32 v[3:4], 4, v[3:4]
	s_delay_alu instid0(VALU_DEP_1) | instskip(SKIP_1) | instid1(VALU_DEP_2)
	v_add_co_u32 v3, s0, s4, v3
	s_wait_alu 0xf1ff
	v_add_co_ci_u32_e64 v4, s0, s5, v4, s0
	s_delay_alu instid0(VALU_DEP_2) | instskip(SKIP_1) | instid1(VALU_DEP_2)
	v_add_co_u32 v1, s0, v3, v1
	s_wait_alu 0xf1ff
	v_add_co_ci_u32_e64 v2, s0, v4, v2, s0
	s_delay_alu instid0(VALU_DEP_2) | instskip(SKIP_1) | instid1(VALU_DEP_2)
	v_add_co_u32 v49, s0, v1, v53
	s_wait_alu 0xf1ff
	v_add_co_ci_u32_e64 v50, s0, 0, v2, s0
	v_add3_u32 v53, 0, v0, v53
	s_clause 0xc
	global_load_b128 v[1:4], v[49:50], off
	global_load_b128 v[5:8], v[49:50], off offset:256
	global_load_b128 v[9:12], v[49:50], off offset:512
	;; [unrolled: 1-line block ×12, first 2 shown]
	s_wait_loadcnt 0xc
	ds_store_b128 v53, v[1:4]
	s_wait_loadcnt 0xb
	ds_store_b128 v53, v[5:8] offset:256
	s_wait_loadcnt 0xa
	ds_store_b128 v53, v[9:12] offset:512
	s_wait_loadcnt 0x9
	ds_store_b128 v53, v[13:16] offset:768
	s_wait_loadcnt 0x8
	ds_store_b128 v53, v[17:20] offset:1024
	s_wait_loadcnt 0x7
	ds_store_b128 v53, v[21:24] offset:1280
	s_wait_loadcnt 0x6
	ds_store_b128 v53, v[25:28] offset:1536
	s_wait_loadcnt 0x5
	ds_store_b128 v53, v[29:32] offset:1792
	s_wait_loadcnt 0x4
	ds_store_b128 v53, v[33:36] offset:2048
	s_wait_loadcnt 0x3
	ds_store_b128 v53, v[37:40] offset:2304
	s_wait_loadcnt 0x2
	ds_store_b128 v53, v[41:44] offset:2560
	s_wait_loadcnt 0x1
	ds_store_b128 v53, v[45:48] offset:2816
	s_wait_loadcnt 0x0
	ds_store_b128 v53, v[49:52] offset:3072
.LBB0_13:
	s_or_b32 exec_lo, exec_lo, s1
	v_add_nc_u32_e32 v70, 0, v0
	v_lshlrev_b32_e32 v67, 4, v66
	s_load_b64 s[2:3], s[2:3], 0x0
	global_wb scope:SCOPE_SE
	s_wait_dscnt 0x0
	s_wait_kmcnt 0x0
	s_barrier_signal -1
	s_barrier_wait -1
	v_add_nc_u32_e32 v71, v70, v67
	v_add3_u32 v72, 0, v67, v0
	global_inv scope:SCOPE_SE
	s_mov_b32 s16, 0x4267c47c
	ds_load_b128 v[4:7], v71
	ds_load_b128 v[24:27], v72 offset:256
	ds_load_b128 v[0:3], v72 offset:3072
	;; [unrolled: 1-line block ×8, first 2 shown]
	s_mov_b32 s0, 0xe00740e9
	s_mov_b32 s20, 0x42a4c3d2
	;; [unrolled: 1-line block ×15, first 2 shown]
	s_wait_dscnt 0x7
	v_add_f64_e32 v[34:35], v[4:5], v[24:25]
	v_add_f64_e32 v[36:37], v[6:7], v[26:27]
	s_wait_dscnt 0x2
	v_add_f64_e64 v[79:80], v[48:49], -v[14:15]
	v_add_f64_e32 v[81:82], v[48:49], v[14:15]
	v_add_f64_e32 v[95:96], v[46:47], v[12:13]
	v_add_f64_e64 v[97:98], v[46:47], -v[12:13]
	v_add_f64_e64 v[62:63], v[26:27], -v[2:3]
	v_add_f64_e32 v[73:74], v[26:27], v[2:3]
	ds_load_b128 v[54:57], v72 offset:1280
	ds_load_b128 v[20:23], v72 offset:2048
	;; [unrolled: 1-line block ×4, first 2 shown]
	s_mov_b32 s11, 0xbfefc445
	s_mov_b32 s15, 0x3fbedb7d
	;; [unrolled: 1-line block ×8, first 2 shown]
	v_add_f64_e64 v[75:76], v[32:33], -v[10:11]
	v_add_f64_e32 v[77:78], v[32:33], v[10:11]
	v_add_f64_e32 v[87:88], v[24:25], v[0:1]
	v_add_f64_e64 v[89:90], v[24:25], -v[0:1]
	s_wait_dscnt 0x4
	v_add_f64_e64 v[103:104], v[52:53], -v[18:19]
	s_mov_b32 s37, 0x3fddbe06
	s_mov_b32 s31, 0x3fea55e2
	;; [unrolled: 1-line block ×7, first 2 shown]
	s_wait_alu 0xfffe
	s_mov_b32 s30, s20
	s_mov_b32 s38, s10
	;; [unrolled: 1-line block ×5, first 2 shown]
	v_add_f64_e32 v[91:92], v[30:31], v[8:9]
	v_add_f64_e64 v[93:94], v[30:31], -v[8:9]
	v_add_f64_e32 v[99:100], v[50:51], v[16:17]
	v_add_f64_e32 v[101:102], v[52:53], v[18:19]
	;; [unrolled: 1-line block ×4, first 2 shown]
	v_add_f64_e64 v[44:45], v[50:51], -v[16:17]
	v_mul_f64_e32 v[129:130], s[24:25], v[79:80]
	v_mul_f64_e32 v[131:132], s[28:29], v[81:82]
	;; [unrolled: 1-line block ×35, first 2 shown]
	v_add_f64_e32 v[46:47], v[83:84], v[46:47]
	v_add_f64_e32 v[48:49], v[85:86], v[48:49]
	v_mul_f64_e32 v[83:84], s[40:41], v[79:80]
	v_mul_f64_e32 v[85:86], s[22:23], v[81:82]
	;; [unrolled: 1-line block ×5, first 2 shown]
	s_wait_alu 0xfffe
	v_mul_f64_e32 v[169:170], s[34:35], v[103:104]
	v_mul_f64_e32 v[103:104], s[30:31], v[103:104]
	v_fma_f64 v[179:180], v[87:88], s[0:1], v[105:106]
	v_fma_f64 v[105:106], v[87:88], s[0:1], -v[105:106]
	v_fma_f64 v[181:182], v[87:88], s[4:5], v[107:108]
	v_fma_f64 v[107:108], v[87:88], s[4:5], -v[107:108]
	;; [unrolled: 2-line block ×4, first 2 shown]
	v_fma_f64 v[187:188], v[89:90], s[30:31], v[117:118]
	v_fma_f64 v[189:190], v[87:88], s[28:29], v[62:63]
	;; [unrolled: 1-line block ×3, first 2 shown]
	v_fma_f64 v[62:63], v[87:88], s[28:29], -v[62:63]
	v_fma_f64 v[191:192], v[89:90], s[40:41], v[121:122]
	v_fma_f64 v[121:122], v[89:90], s[12:13], v[121:122]
	;; [unrolled: 1-line block ×6, first 2 shown]
	s_wait_dscnt 0x2
	v_add_f64_e32 v[38:39], v[54:55], v[20:21]
	v_add_f64_e32 v[40:41], v[56:57], v[22:23]
	v_add_f64_e64 v[32:33], v[54:55], -v[20:21]
	v_add_f64_e64 v[42:43], v[56:57], -v[22:23]
	s_wait_dscnt 0x0
	v_add_f64_e32 v[30:31], v[58:59], v[26:27]
	v_add_f64_e32 v[34:35], v[60:61], v[28:29]
	v_add_f64_e64 v[24:25], v[58:59], -v[26:27]
	v_add_f64_e64 v[36:37], v[60:61], -v[28:29]
	v_mul_f64_e32 v[171:172], s[22:23], v[101:102]
	v_mul_f64_e32 v[173:174], s[26:27], v[101:102]
	;; [unrolled: 1-line block ×3, first 2 shown]
	v_add_f64_e32 v[46:47], v[46:47], v[50:51]
	v_add_f64_e32 v[48:49], v[48:49], v[52:53]
	v_fma_f64 v[50:51], v[89:90], s[36:37], v[115:116]
	v_fma_f64 v[52:53], v[87:88], s[26:27], v[113:114]
	;; [unrolled: 1-line block ×3, first 2 shown]
	v_fma_f64 v[113:114], v[87:88], s[26:27], -v[113:114]
	v_fma_f64 v[87:88], v[89:90], s[38:39], v[119:120]
	v_fma_f64 v[119:120], v[89:90], s[10:11], v[119:120]
	v_mul_f64_e32 v[177:178], s[14:15], v[101:102]
	v_fma_f64 v[89:90], v[91:92], s[22:23], v[125:126]
	v_fma_f64 v[197:198], v[93:94], s[40:41], v[127:128]
	;; [unrolled: 1-line block ×11, first 2 shown]
	v_fma_f64 v[151:152], v[91:92], s[4:5], -v[151:152]
	v_fma_f64 v[125:126], v[91:92], s[22:23], -v[125:126]
	;; [unrolled: 1-line block ×5, first 2 shown]
	v_fma_f64 v[217:218], v[91:92], s[0:1], v[75:76]
	v_fma_f64 v[75:76], v[91:92], s[0:1], -v[75:76]
	v_fma_f64 v[91:92], v[93:94], s[10:11], v[147:148]
	v_fma_f64 v[219:220], v[93:94], s[30:31], v[153:154]
	v_fma_f64 v[129:130], v[95:96], s[28:29], -v[129:130]
	v_fma_f64 v[83:84], v[95:96], s[22:23], -v[83:84]
	;; [unrolled: 1-line block ×3, first 2 shown]
	v_fma_f64 v[221:222], v[95:96], s[26:27], v[79:80]
	v_fma_f64 v[79:80], v[95:96], s[26:27], -v[79:80]
	v_fma_f64 v[223:224], v[97:98], s[34:35], v[131:132]
	v_fma_f64 v[131:132], v[97:98], s[24:25], v[131:132]
	;; [unrolled: 1-line block ×4, first 2 shown]
	v_add_f64_e32 v[46:47], v[46:47], v[54:55]
	v_add_f64_e32 v[48:49], v[48:49], v[56:57]
	v_fma_f64 v[54:55], v[93:94], s[20:21], v[153:154]
	v_fma_f64 v[56:57], v[93:94], s[12:13], v[127:128]
	;; [unrolled: 1-line block ×9, first 2 shown]
	v_fma_f64 v[155:156], v[95:96], s[14:15], -v[155:156]
	v_fma_f64 v[149:150], v[95:96], s[4:5], -v[149:150]
	v_fma_f64 v[95:96], v[97:98], s[38:39], v[157:158]
	v_fma_f64 v[157:158], v[97:98], s[10:11], v[157:158]
	;; [unrolled: 1-line block ×9, first 2 shown]
	v_fma_f64 v[161:162], v[99:100], s[22:23], -v[161:162]
	v_fma_f64 v[233:234], v[99:100], s[26:27], v[163:164]
	v_fma_f64 v[163:164], v[99:100], s[26:27], -v[163:164]
	v_fma_f64 v[235:236], v[99:100], s[0:1], v[165:166]
	v_fma_f64 v[165:166], v[99:100], s[0:1], -v[165:166]
	v_fma_f64 v[237:238], v[99:100], s[14:15], v[167:168]
	v_fma_f64 v[167:168], v[99:100], s[14:15], -v[167:168]
	v_add_f64_e32 v[181:182], v[4:5], v[181:182]
	v_add_f64_e32 v[187:188], v[6:7], v[187:188]
	;; [unrolled: 1-line block ×11, first 2 shown]
	v_fma_f64 v[58:59], v[99:100], s[28:29], v[169:170]
	v_fma_f64 v[60:61], v[99:100], s[28:29], -v[169:170]
	v_fma_f64 v[169:170], v[99:100], s[4:5], v[103:104]
	v_fma_f64 v[99:100], v[99:100], s[4:5], -v[103:104]
	v_mul_f64_e32 v[103:104], s[28:29], v[101:102]
	v_mul_f64_e32 v[101:102], s[4:5], v[101:102]
	v_add_f64_e32 v[107:108], v[4:5], v[107:108]
	v_add_f64_e32 v[191:192], v[6:7], v[191:192]
	;; [unrolled: 1-line block ×15, first 2 shown]
	v_fma_f64 v[62:63], v[44:45], s[40:41], v[171:172]
	v_fma_f64 v[73:74], v[44:45], s[12:13], v[171:172]
	;; [unrolled: 1-line block ×4, first 2 shown]
	global_wb scope:SCOPE_SE
	s_barrier_signal -1
	v_add_f64_e32 v[89:90], v[89:90], v[181:182]
	v_mul_f64_e32 v[181:182], s[18:19], v[42:43]
	v_add_f64_e32 v[179:180], v[215:216], v[179:180]
	v_add_f64_e32 v[50:51], v[219:220], v[50:51]
	;; [unrolled: 1-line block ×9, first 2 shown]
	v_fma_f64 v[46:47], v[44:45], s[16:17], v[175:176]
	v_fma_f64 v[48:49], v[44:45], s[36:37], v[175:176]
	;; [unrolled: 1-line block ×8, first 2 shown]
	v_add_f64_e32 v[101:102], v[197:198], v[187:188]
	v_add_f64_e32 v[191:192], v[209:210], v[191:192]
	;; [unrolled: 1-line block ×14, first 2 shown]
	v_mul_f64_e32 v[187:188], s[38:39], v[42:43]
	v_mul_f64_e32 v[197:198], s[20:21], v[42:43]
	;; [unrolled: 1-line block ×9, first 2 shown]
	v_add_f64_e32 v[89:90], v[199:200], v[89:90]
	v_add_f64_e32 v[183:184], v[205:206], v[183:184]
	;; [unrolled: 1-line block ×9, first 2 shown]
	v_mul_f64_e32 v[113:114], s[26:27], v[40:41]
	v_mul_f64_e32 v[40:41], s[22:23], v[40:41]
	v_add_f64_e32 v[105:106], v[155:156], v[105:106]
	v_add_f64_e32 v[54:55], v[157:158], v[54:55]
	;; [unrolled: 1-line block ×3, first 2 shown]
	v_mul_f64_e32 v[193:194], s[36:37], v[36:37]
	v_add_f64_e32 v[101:102], v[223:224], v[101:102]
	v_add_f64_e32 v[191:192], v[227:228], v[191:192]
	;; [unrolled: 1-line block ×14, first 2 shown]
	v_mul_f64_e32 v[209:210], s[0:1], v[34:35]
	v_mul_f64_e32 v[115:116], s[18:19], v[36:37]
	;; [unrolled: 1-line block ×6, first 2 shown]
	v_fma_f64 v[189:190], v[38:39], s[26:27], v[181:182]
	v_fma_f64 v[181:182], v[38:39], s[26:27], -v[181:182]
	v_fma_f64 v[195:196], v[38:39], s[14:15], v[187:188]
	v_fma_f64 v[187:188], v[38:39], s[14:15], -v[187:188]
	;; [unrolled: 2-line block ×4, first 2 shown]
	v_add_f64_e32 v[16:17], v[20:21], v[16:17]
	v_add_f64_e32 v[26:27], v[149:150], v[26:27]
	;; [unrolled: 1-line block ×4, first 2 shown]
	v_fma_f64 v[28:29], v[38:39], s[0:1], v[203:204]
	v_fma_f64 v[203:204], v[38:39], s[0:1], -v[203:204]
	v_fma_f64 v[213:214], v[38:39], s[22:23], v[42:43]
	v_fma_f64 v[38:39], v[38:39], s[22:23], -v[42:43]
	v_mul_f64_e32 v[42:43], s[22:23], v[34:35]
	v_mul_f64_e32 v[117:118], s[24:25], v[36:37]
	;; [unrolled: 1-line block ×5, first 2 shown]
	v_fma_f64 v[20:21], v[32:33], s[10:11], v[207:208]
	v_fma_f64 v[205:206], v[32:33], s[30:31], v[151:152]
	v_fma_f64 v[129:130], v[32:33], s[24:25], v[133:134]
	v_fma_f64 v[143:144], v[32:33], s[16:17], v[137:138]
	v_fma_f64 v[131:132], v[32:33], s[18:19], v[113:114]
	v_fma_f64 v[95:96], v[32:33], s[20:21], v[151:152]
	v_add_f64_e32 v[22:23], v[233:234], v[89:90]
	v_add_f64_e32 v[89:90], v[171:172], v[101:102]
	;; [unrolled: 1-line block ×8, first 2 shown]
	v_fma_f64 v[91:92], v[32:33], s[36:37], v[137:138]
	v_add_f64_e32 v[97:98], v[97:98], v[153:154]
	v_add_f64_e32 v[105:106], v[161:162], v[105:106]
	;; [unrolled: 1-line block ×11, first 2 shown]
	v_fma_f64 v[16:17], v[32:33], s[34:35], v[133:134]
	v_fma_f64 v[133:134], v[32:33], s[40:41], v[40:41]
	;; [unrolled: 1-line block ×3, first 2 shown]
	v_add_f64_e32 v[26:27], v[60:61], v[26:27]
	v_add_f64_e32 v[60:61], v[103:104], v[119:120]
	;; [unrolled: 1-line block ×4, first 2 shown]
	v_fma_f64 v[111:112], v[32:33], s[42:43], v[113:114]
	v_fma_f64 v[32:33], v[32:33], s[38:39], v[207:208]
	v_add_f64_e32 v[56:57], v[173:174], v[56:57]
	v_add_f64_e32 v[50:51], v[62:63], v[50:51]
	;; [unrolled: 1-line block ×3, first 2 shown]
	v_fma_f64 v[93:94], v[30:31], s[0:1], v[193:194]
	v_fma_f64 v[199:200], v[24:25], s[16:17], v[209:210]
	;; [unrolled: 1-line block ×9, first 2 shown]
	v_fma_f64 v[117:118], v[30:31], s[28:29], -v[117:118]
	v_fma_f64 v[119:120], v[30:31], s[0:1], -v[193:194]
	;; [unrolled: 1-line block ×3, first 2 shown]
	v_add_f64_e32 v[18:19], v[195:196], v[22:23]
	v_add_f64_e32 v[20:21], v[20:21], v[89:90]
	;; [unrolled: 1-line block ×8, first 2 shown]
	v_fma_f64 v[87:88], v[30:31], s[4:5], -v[127:128]
	v_fma_f64 v[89:90], v[30:31], s[22:23], -v[139:140]
	v_fma_f64 v[101:102], v[30:31], s[14:15], v[36:37]
	v_fma_f64 v[30:31], v[30:31], s[14:15], -v[36:37]
	v_add_f64_e32 v[97:98], v[189:190], v[97:98]
	v_add_f64_e32 v[58:59], v[12:13], v[8:9]
	;; [unrolled: 1-line block ×15, first 2 shown]
	v_fma_f64 v[38:39], v[24:25], s[10:11], v[215:216]
	v_fma_f64 v[107:108], v[24:25], s[36:37], v[209:210]
	;; [unrolled: 1-line block ×6, first 2 shown]
	v_add_f64_e32 v[56:57], v[32:33], v[56:57]
	v_fma_f64 v[123:124], v[24:25], s[24:25], v[34:35]
	v_add_f64_e32 v[111:112], v[111:112], v[50:51]
	v_fma_f64 v[125:126], v[24:25], s[34:35], v[34:35]
	v_add_f64_e32 v[127:128], v[14:15], v[10:11]
	v_add_f64_e32 v[8:9], v[93:94], v[18:19]
	;; [unrolled: 1-line block ×9, first 2 shown]
	v_cmp_gt_u32_e64 s0, 13, v66
	v_mad_u32_u24 v52, 0xd0, v66, v70
	s_barrier_wait -1
	global_inv scope:SCOPE_SE
	v_add_f64_e32 v[0:1], v[58:59], v[0:1]
	v_add_f64_e32 v[44:45], v[117:118], v[36:37]
                                        ; implicit-def: $vgpr58_vgpr59
	v_add_f64_e32 v[40:41], v[119:120], v[73:74]
	v_add_f64_e32 v[48:49], v[62:63], v[83:84]
                                        ; implicit-def: $vgpr62_vgpr63
	v_add_f64_e32 v[36:37], v[87:88], v[85:86]
	v_add_f64_e32 v[28:29], v[89:90], v[26:27]
	;; [unrolled: 1-line block ×12, first 2 shown]
                                        ; implicit-def: $vgpr54_vgpr55
	v_add_f64_e32 v[6:7], v[125:126], v[111:112]
	v_add_f64_e32 v[2:3], v[127:128], v[2:3]
	ds_store_b128 v52, v[8:11] offset:32
	ds_store_b128 v52, v[12:15] offset:48
	;; [unrolled: 1-line block ×12, first 2 shown]
	ds_store_b128 v52, v[0:3]
	global_wb scope:SCOPE_SE
	s_wait_dscnt 0x0
	s_barrier_signal -1
	s_barrier_wait -1
	global_inv scope:SCOPE_SE
	s_and_saveexec_b32 s1, s0
	s_cbranch_execz .LBB0_15
; %bb.14:
	ds_load_b128 v[0:3], v71
	ds_load_b128 v[4:7], v72 offset:208
	ds_load_b128 v[8:11], v72 offset:416
	;; [unrolled: 1-line block ×15, first 2 shown]
.LBB0_15:
	s_wait_alu 0xfffe
	s_or_b32 exec_lo, exec_lo, s1
	global_wb scope:SCOPE_SE
	s_wait_dscnt 0x0
	s_barrier_signal -1
	s_barrier_wait -1
	global_inv scope:SCOPE_SE
	s_and_saveexec_b32 s10, s0
	s_cbranch_execz .LBB0_17
; %bb.16:
	v_dual_mov_b32 v74, 0 :: v_dual_add_nc_u32 v73, -13, v66
	s_mov_b32 s5, 0xbfe6a09e
	s_mov_b32 s12, 0xcf328d46
	;; [unrolled: 1-line block ×3, first 2 shown]
	s_delay_alu instid0(VALU_DEP_1)
	v_cndmask_b32_e64 v73, v73, v66, s0
	s_mov_b32 s14, 0xa6aea964
	s_mov_b32 s15, 0xbfd87de2
	;; [unrolled: 1-line block ×3, first 2 shown]
	s_wait_alu 0xfffe
	s_mov_b32 s16, s14
	v_mul_i32_i24_e32 v73, 15, v73
	s_mov_b32 s19, 0xbfed906b
	s_mov_b32 s18, s12
	s_delay_alu instid0(VALU_DEP_1) | instskip(NEXT) | instid1(VALU_DEP_1)
	v_lshlrev_b64_e32 v[73:74], 4, v[73:74]
	v_add_co_u32 v129, s0, s8, v73
	s_wait_alu 0xf1ff
	s_delay_alu instid0(VALU_DEP_2)
	v_add_co_ci_u32_e64 v130, s0, s9, v74, s0
	s_mov_b32 s0, 0x667f3bcd
	s_mov_b32 s1, 0x3fe6a09e
	s_wait_alu 0xfffe
	s_mov_b32 s4, s0
	s_clause 0xe
	global_load_b128 v[73:76], v[129:130], off offset:16
	global_load_b128 v[77:80], v[129:130], off offset:144
	;; [unrolled: 1-line block ×7, first 2 shown]
	global_load_b128 v[101:104], v[129:130], off
	global_load_b128 v[105:108], v[129:130], off offset:128
	global_load_b128 v[109:112], v[129:130], off offset:64
	;; [unrolled: 1-line block ×7, first 2 shown]
	s_wait_loadcnt 0xe
	v_mul_f64_e32 v[133:134], v[8:9], v[75:76]
	s_wait_loadcnt 0xd
	v_mul_f64_e32 v[135:136], v[48:49], v[79:80]
	;; [unrolled: 2-line block ×7, first 2 shown]
	v_mul_f64_e32 v[75:76], v[10:11], v[75:76]
	v_mul_f64_e32 v[79:80], v[50:51], v[79:80]
	;; [unrolled: 1-line block ×4, first 2 shown]
	s_wait_loadcnt 0x7
	v_mul_f64_e32 v[147:148], v[4:5], v[103:104]
	s_wait_loadcnt 0x6
	v_mul_f64_e32 v[149:150], v[36:37], v[107:108]
	;; [unrolled: 2-line block ×8, first 2 shown]
	v_mul_f64_e32 v[119:120], v[14:15], v[119:120]
	v_mul_f64_e32 v[123:124], v[42:43], v[123:124]
	;; [unrolled: 1-line block ×11, first 2 shown]
	v_fma_f64 v[10:11], v[10:11], v[73:74], -v[133:134]
	v_fma_f64 v[50:51], v[50:51], v[77:78], -v[135:136]
	v_fma_f64 v[24:25], v[24:25], v[81:82], v[137:138]
	v_fma_f64 v[56:57], v[56:57], v[85:86], v[139:140]
	v_fma_f64 v[30:31], v[30:31], v[89:90], -v[141:142]
	v_fma_f64 v[16:17], v[16:17], v[93:94], v[143:144]
	v_fma_f64 v[44:45], v[44:45], v[97:98], v[145:146]
	;; [unrolled: 1-line block ×4, first 2 shown]
	v_fma_f64 v[26:27], v[26:27], v[81:82], -v[83:84]
	v_fma_f64 v[58:59], v[58:59], v[85:86], -v[87:88]
	;; [unrolled: 1-line block ×4, first 2 shown]
	v_fma_f64 v[20:21], v[20:21], v[109:110], v[151:152]
	v_fma_f64 v[52:53], v[52:53], v[113:114], v[153:154]
	v_fma_f64 v[14:15], v[14:15], v[117:118], -v[155:156]
	v_fma_f64 v[42:43], v[42:43], v[121:122], -v[157:158]
	v_fma_f64 v[32:33], v[32:33], v[125:126], v[159:160]
	v_fma_f64 v[60:61], v[60:61], v[129:130], v[161:162]
	;; [unrolled: 1-line block ×4, first 2 shown]
	v_fma_f64 v[34:35], v[34:35], v[125:126], -v[127:128]
	v_fma_f64 v[62:63], v[62:63], v[129:130], -v[131:132]
	v_fma_f64 v[4:5], v[4:5], v[101:102], v[103:104]
	v_fma_f64 v[36:37], v[36:37], v[105:106], v[107:108]
	v_fma_f64 v[22:23], v[22:23], v[109:110], -v[111:112]
	v_fma_f64 v[54:55], v[54:55], v[113:114], -v[115:116]
	;; [unrolled: 1-line block ×4, first 2 shown]
	v_fma_f64 v[28:29], v[28:29], v[89:90], v[91:92]
	v_add_f64_e64 v[50:51], v[10:11], -v[50:51]
	v_add_f64_e64 v[56:57], v[24:25], -v[56:57]
	;; [unrolled: 1-line block ×16, first 2 shown]
	v_fma_f64 v[10:11], v[10:11], 2.0, -v[50:51]
	v_add_f64_e64 v[75:76], v[50:51], -v[56:57]
	v_fma_f64 v[2:3], v[2:3], 2.0, -v[30:31]
	v_fma_f64 v[24:25], v[24:25], 2.0, -v[56:57]
	v_add_f64_e64 v[73:74], v[30:31], -v[44:45]
	v_fma_f64 v[16:17], v[16:17], 2.0, -v[44:45]
	v_fma_f64 v[8:9], v[8:9], 2.0, -v[48:49]
	v_add_f64_e32 v[77:78], v[48:49], v[58:59]
	v_fma_f64 v[26:27], v[26:27], 2.0, -v[58:59]
	v_fma_f64 v[6:7], v[6:7], 2.0, -v[38:39]
	v_add_f64_e64 v[79:80], v[38:39], -v[52:53]
	v_fma_f64 v[20:21], v[20:21], 2.0, -v[52:53]
	v_fma_f64 v[14:15], v[14:15], 2.0, -v[42:43]
	v_add_f64_e64 v[81:82], v[42:43], -v[60:61]
	v_fma_f64 v[32:33], v[32:33], 2.0, -v[60:61]
	v_fma_f64 v[12:13], v[12:13], 2.0, -v[40:41]
	v_add_f64_e32 v[83:84], v[40:41], v[62:63]
	v_fma_f64 v[34:35], v[34:35], 2.0, -v[62:63]
	v_fma_f64 v[4:5], v[4:5], 2.0, -v[36:37]
	v_add_f64_e32 v[85:86], v[36:37], v[54:55]
	;; [unrolled: 3-line block ×3, first 2 shown]
	v_fma_f64 v[0:1], v[0:1], 2.0, -v[28:29]
	v_fma_f64 v[44:45], v[50:51], 2.0, -v[75:76]
	;; [unrolled: 1-line block ×3, first 2 shown]
	v_add_f64_e64 v[24:25], v[8:9], -v[24:25]
	v_fma_f64 v[46:47], v[48:49], 2.0, -v[77:78]
	v_fma_f64 v[48:49], v[75:76], s[0:1], v[73:74]
	v_add_f64_e64 v[26:27], v[10:11], -v[26:27]
	v_fma_f64 v[38:39], v[38:39], 2.0, -v[79:80]
	v_fma_f64 v[42:43], v[42:43], 2.0, -v[81:82]
	v_fma_f64 v[50:51], v[81:82], s[0:1], v[79:80]
	v_add_f64_e64 v[32:33], v[12:13], -v[32:33]
	v_fma_f64 v[40:41], v[40:41], 2.0, -v[83:84]
	v_add_f64_e64 v[34:35], v[14:15], -v[34:35]
	v_add_f64_e64 v[20:21], v[4:5], -v[20:21]
	v_fma_f64 v[36:37], v[36:37], 2.0, -v[85:86]
	v_fma_f64 v[52:53], v[83:84], s[0:1], v[85:86]
	v_add_f64_e64 v[18:19], v[2:3], -v[18:19]
	v_fma_f64 v[28:29], v[28:29], 2.0, -v[87:88]
	v_fma_f64 v[54:55], v[77:78], s[0:1], v[87:88]
	v_add_f64_e64 v[22:23], v[6:7], -v[22:23]
	v_add_f64_e64 v[16:17], v[0:1], -v[16:17]
	s_wait_alu 0xfffe
	v_fma_f64 v[56:57], v[44:45], s[4:5], v[30:31]
	v_fma_f64 v[8:9], v[8:9], 2.0, -v[24:25]
	v_fma_f64 v[48:49], v[77:78], s[4:5], v[48:49]
	v_fma_f64 v[10:11], v[10:11], 2.0, -v[26:27]
	v_fma_f64 v[58:59], v[42:43], s[4:5], v[38:39]
	v_fma_f64 v[50:51], v[83:84], s[4:5], v[50:51]
	v_fma_f64 v[12:13], v[12:13], 2.0, -v[32:33]
	v_fma_f64 v[14:15], v[14:15], 2.0, -v[34:35]
	v_add_f64_e32 v[77:78], v[20:21], v[34:35]
	v_fma_f64 v[4:5], v[4:5], 2.0, -v[20:21]
	v_fma_f64 v[60:61], v[40:41], s[4:5], v[36:37]
	v_fma_f64 v[52:53], v[81:82], s[0:1], v[52:53]
	v_fma_f64 v[2:3], v[2:3], 2.0, -v[18:19]
	v_fma_f64 v[62:63], v[46:47], s[4:5], v[28:29]
	v_fma_f64 v[54:55], v[75:76], s[0:1], v[54:55]
	v_add_f64_e64 v[75:76], v[18:19], -v[24:25]
	v_add_f64_e64 v[32:33], v[22:23], -v[32:33]
	v_add_f64_e32 v[81:82], v[16:17], v[26:27]
	v_fma_f64 v[0:1], v[0:1], 2.0, -v[16:17]
	v_fma_f64 v[6:7], v[6:7], 2.0, -v[22:23]
	v_fma_f64 v[56:57], v[46:47], s[4:5], v[56:57]
	v_fma_f64 v[24:25], v[40:41], s[4:5], v[58:59]
	;; [unrolled: 1-line block ×3, first 2 shown]
	v_fma_f64 v[34:35], v[85:86], 2.0, -v[52:53]
	v_add_f64_e64 v[40:41], v[2:3], -v[10:11]
	v_fma_f64 v[58:59], v[44:45], s[0:1], v[62:63]
	v_add_f64_e64 v[10:11], v[4:5], -v[12:13]
	v_fma_f64 v[60:61], v[18:19], 2.0, -v[75:76]
	v_fma_f64 v[22:23], v[22:23], 2.0, -v[32:33]
	;; [unrolled: 1-line block ×7, first 2 shown]
	v_add_f64_e64 v[46:47], v[0:1], -v[8:9]
	v_add_f64_e64 v[8:9], v[6:7], -v[14:15]
	v_fma_f64 v[16:17], v[32:33], s[0:1], v[75:76]
	v_fma_f64 v[20:21], v[77:78], s[0:1], v[81:82]
	;; [unrolled: 1-line block ×3, first 2 shown]
	v_fma_f64 v[79:80], v[30:31], 2.0, -v[56:57]
	v_fma_f64 v[38:39], v[38:39], 2.0, -v[24:25]
	;; [unrolled: 1-line block ×3, first 2 shown]
	v_fma_f64 v[36:37], v[24:25], s[16:17], v[56:57]
	v_fma_f64 v[93:94], v[2:3], 2.0, -v[40:41]
	v_fma_f64 v[83:84], v[28:29], 2.0, -v[58:59]
	v_fma_f64 v[28:29], v[52:53], s[12:13], v[54:55]
	v_fma_f64 v[42:43], v[26:27], s[16:17], v[58:59]
	;; [unrolled: 1-line block ×3, first 2 shown]
	v_fma_f64 v[99:100], v[4:5], 2.0, -v[10:11]
	v_fma_f64 v[89:90], v[18:19], s[4:5], v[62:63]
	v_add_f64_e64 v[10:11], v[40:41], -v[10:11]
	v_fma_f64 v[85:86], v[12:13], s[14:15], v[44:45]
	v_fma_f64 v[91:92], v[34:35], s[14:15], v[73:74]
	v_fma_f64 v[97:98], v[0:1], 2.0, -v[46:47]
	v_fma_f64 v[95:96], v[6:7], 2.0, -v[8:9]
	v_fma_f64 v[6:7], v[77:78], s[4:5], v[16:17]
	v_fma_f64 v[4:5], v[32:33], s[0:1], v[20:21]
	;; [unrolled: 1-line block ×3, first 2 shown]
	v_add_f64_e32 v[8:9], v[46:47], v[8:9]
	v_fma_f64 v[101:102], v[38:39], s[18:19], v[79:80]
	v_fma_f64 v[103:104], v[30:31], s[18:19], v[83:84]
	v_fma_f64 v[0:1], v[50:51], s[16:17], v[28:29]
	v_fma_f64 v[20:21], v[24:25], s[12:13], v[42:43]
	v_fma_f64 v[18:19], v[18:19], s[4:5], v[87:88]
	v_fma_f64 v[16:17], v[22:23], s[0:1], v[89:90]
	v_fma_f64 v[22:23], v[26:27], s[18:19], v[36:37]
	v_fma_f64 v[14:15], v[34:35], s[18:19], v[85:86]
	v_fma_f64 v[12:13], v[12:13], s[12:13], v[91:92]
	v_add_f64_e64 v[24:25], v[97:98], -v[99:100]
	v_add_f64_e64 v[26:27], v[93:94], -v[95:96]
	v_fma_f64 v[42:43], v[40:41], 2.0, -v[10:11]
	v_fma_f64 v[36:37], v[81:82], 2.0, -v[4:5]
	;; [unrolled: 1-line block ×4, first 2 shown]
	v_fma_f64 v[30:31], v[30:31], s[14:15], v[101:102]
	v_fma_f64 v[28:29], v[38:39], s[16:17], v[103:104]
	v_fma_f64 v[38:39], v[75:76], 2.0, -v[6:7]
	v_fma_f64 v[32:33], v[54:55], 2.0, -v[0:1]
	;; [unrolled: 1-line block ×12, first 2 shown]
	ds_store_b128 v72, v[36:39] offset:1248
	ds_store_b128 v72, v[32:35] offset:1456
	;; [unrolled: 1-line block ×12, first 2 shown]
	ds_store_b128 v71, v[56:59]
	ds_store_b128 v72, v[60:63] offset:208
	ds_store_b128 v72, v[4:7] offset:2912
	;; [unrolled: 1-line block ×3, first 2 shown]
.LBB0_17:
	s_wait_alu 0xfffe
	s_or_b32 exec_lo, exec_lo, s10
	global_wb scope:SCOPE_SE
	s_wait_dscnt 0x0
	s_barrier_signal -1
	s_barrier_wait -1
	global_inv scope:SCOPE_SE
	ds_load_b128 v[4:7], v71
	v_sub_nc_u32_e32 v12, v70, v67
	s_mov_b32 s1, exec_lo
                                        ; implicit-def: $vgpr2_vgpr3
                                        ; implicit-def: $vgpr8_vgpr9
                                        ; implicit-def: $vgpr10_vgpr11
	v_cmpx_ne_u32_e32 0, v66
	s_wait_alu 0xfffe
	s_xor_b32 s1, exec_lo, s1
	s_cbranch_execz .LBB0_19
; %bb.18:
	v_mov_b32_e32 v67, 0
	s_delay_alu instid0(VALU_DEP_1) | instskip(NEXT) | instid1(VALU_DEP_1)
	v_lshlrev_b64_e32 v[0:1], 4, v[66:67]
	v_add_co_u32 v0, s0, s8, v0
	s_wait_alu 0xf1ff
	s_delay_alu instid0(VALU_DEP_2)
	v_add_co_ci_u32_e64 v1, s0, s9, v1, s0
	global_load_b128 v[13:16], v[0:1], off offset:3120
	ds_load_b128 v[0:3], v12 offset:3328
	s_wait_dscnt 0x0
	v_add_f64_e64 v[8:9], v[4:5], -v[0:1]
	v_add_f64_e32 v[10:11], v[6:7], v[2:3]
	v_add_f64_e64 v[2:3], v[6:7], -v[2:3]
	v_add_f64_e32 v[0:1], v[4:5], v[0:1]
	s_delay_alu instid0(VALU_DEP_4) | instskip(NEXT) | instid1(VALU_DEP_4)
	v_mul_f64_e32 v[6:7], 0.5, v[8:9]
	v_mul_f64_e32 v[4:5], 0.5, v[10:11]
	s_delay_alu instid0(VALU_DEP_4) | instskip(SKIP_1) | instid1(VALU_DEP_3)
	v_mul_f64_e32 v[2:3], 0.5, v[2:3]
	s_wait_loadcnt 0x0
	v_mul_f64_e32 v[8:9], v[6:7], v[15:16]
	s_delay_alu instid0(VALU_DEP_2) | instskip(SKIP_1) | instid1(VALU_DEP_3)
	v_fma_f64 v[10:11], v[4:5], v[15:16], v[2:3]
	v_fma_f64 v[2:3], v[4:5], v[15:16], -v[2:3]
	v_fma_f64 v[17:18], v[0:1], 0.5, v[8:9]
	v_fma_f64 v[0:1], v[0:1], 0.5, -v[8:9]
	s_delay_alu instid0(VALU_DEP_4) | instskip(NEXT) | instid1(VALU_DEP_4)
	v_fma_f64 v[8:9], -v[13:14], v[6:7], v[10:11]
	v_fma_f64 v[2:3], -v[13:14], v[6:7], v[2:3]
	v_dual_mov_b32 v10, v66 :: v_dual_mov_b32 v11, v67
	v_fma_f64 v[15:16], v[4:5], v[13:14], v[17:18]
	v_fma_f64 v[0:1], -v[4:5], v[13:14], v[0:1]
                                        ; implicit-def: $vgpr4_vgpr5
	ds_store_b64 v71, v[15:16]
.LBB0_19:
	s_wait_alu 0xfffe
	s_and_not1_saveexec_b32 s0, s1
	s_cbranch_execz .LBB0_21
; %bb.20:
	s_wait_dscnt 0x0
	v_add_f64_e32 v[13:14], v[4:5], v[6:7]
	v_add_f64_e64 v[0:1], v[4:5], -v[6:7]
	ds_load_b64 v[4:5], v70 offset:1672
	v_mov_b32_e32 v8, 0
	v_dual_mov_b32 v9, 0 :: v_dual_mov_b32 v10, 0
	s_delay_alu instid0(VALU_DEP_2) | instskip(NEXT) | instid1(VALU_DEP_2)
	v_dual_mov_b32 v11, 0 :: v_dual_mov_b32 v2, v8
	v_mov_b32_e32 v3, v9
	s_wait_dscnt 0x0
	v_xor_b32_e32 v5, 0x80000000, v5
	ds_store_b64 v71, v[13:14]
	ds_store_b64 v70, v[4:5] offset:1672
.LBB0_21:
	s_wait_alu 0xfffe
	s_or_b32 exec_lo, exec_lo, s0
	s_wait_dscnt 0x0
	v_lshlrev_b64_e32 v[4:5], 4, v[10:11]
	s_add_nc_u64 s[0:1], s[8:9], 0xc30
	s_wait_alu 0xfffe
	s_delay_alu instid0(VALU_DEP_1) | instskip(SKIP_1) | instid1(VALU_DEP_2)
	v_add_co_u32 v4, s0, s0, v4
	s_wait_alu 0xf1ff
	v_add_co_ci_u32_e64 v5, s0, s1, v5, s0
	s_mov_b32 s1, exec_lo
	s_clause 0x1
	global_load_b128 v[13:16], v[4:5], off offset:256
	global_load_b128 v[17:20], v[4:5], off offset:512
	ds_store_b64 v71, v[8:9] offset:8
	ds_store_b128 v12, v[0:3] offset:3328
	ds_load_b128 v[0:3], v71 offset:256
	ds_load_b128 v[6:9], v12 offset:3072
	s_wait_dscnt 0x0
	v_add_f64_e64 v[10:11], v[0:1], -v[6:7]
	v_add_f64_e32 v[21:22], v[2:3], v[8:9]
	v_add_f64_e64 v[2:3], v[2:3], -v[8:9]
	v_add_f64_e32 v[0:1], v[0:1], v[6:7]
	s_delay_alu instid0(VALU_DEP_4) | instskip(NEXT) | instid1(VALU_DEP_4)
	v_mul_f64_e32 v[8:9], 0.5, v[10:11]
	v_mul_f64_e32 v[10:11], 0.5, v[21:22]
	s_delay_alu instid0(VALU_DEP_4) | instskip(SKIP_1) | instid1(VALU_DEP_3)
	v_mul_f64_e32 v[2:3], 0.5, v[2:3]
	s_wait_loadcnt 0x1
	v_mul_f64_e32 v[6:7], v[8:9], v[15:16]
	s_delay_alu instid0(VALU_DEP_2) | instskip(SKIP_1) | instid1(VALU_DEP_3)
	v_fma_f64 v[21:22], v[10:11], v[15:16], v[2:3]
	v_fma_f64 v[15:16], v[10:11], v[15:16], -v[2:3]
	v_fma_f64 v[23:24], v[0:1], 0.5, v[6:7]
	v_fma_f64 v[6:7], v[0:1], 0.5, -v[6:7]
	s_delay_alu instid0(VALU_DEP_4) | instskip(NEXT) | instid1(VALU_DEP_4)
	v_fma_f64 v[2:3], -v[13:14], v[8:9], v[21:22]
	v_fma_f64 v[8:9], -v[13:14], v[8:9], v[15:16]
	s_delay_alu instid0(VALU_DEP_4) | instskip(NEXT) | instid1(VALU_DEP_4)
	v_fma_f64 v[0:1], v[10:11], v[13:14], v[23:24]
	v_fma_f64 v[6:7], -v[10:11], v[13:14], v[6:7]
	global_load_b128 v[13:16], v[4:5], off offset:768
	ds_store_b128 v71, v[0:3] offset:256
	ds_store_b128 v12, v[6:9] offset:3072
	ds_load_b128 v[0:3], v71 offset:512
	ds_load_b128 v[6:9], v12 offset:2816
	s_wait_dscnt 0x0
	v_add_f64_e64 v[10:11], v[0:1], -v[6:7]
	v_add_f64_e32 v[21:22], v[2:3], v[8:9]
	v_add_f64_e64 v[2:3], v[2:3], -v[8:9]
	v_add_f64_e32 v[0:1], v[0:1], v[6:7]
	s_delay_alu instid0(VALU_DEP_4) | instskip(NEXT) | instid1(VALU_DEP_4)
	v_mul_f64_e32 v[8:9], 0.5, v[10:11]
	v_mul_f64_e32 v[10:11], 0.5, v[21:22]
	s_delay_alu instid0(VALU_DEP_4) | instskip(SKIP_1) | instid1(VALU_DEP_3)
	v_mul_f64_e32 v[2:3], 0.5, v[2:3]
	s_wait_loadcnt 0x1
	v_mul_f64_e32 v[6:7], v[8:9], v[19:20]
	s_delay_alu instid0(VALU_DEP_2) | instskip(SKIP_1) | instid1(VALU_DEP_3)
	v_fma_f64 v[21:22], v[10:11], v[19:20], v[2:3]
	v_fma_f64 v[19:20], v[10:11], v[19:20], -v[2:3]
	v_fma_f64 v[23:24], v[0:1], 0.5, v[6:7]
	v_fma_f64 v[6:7], v[0:1], 0.5, -v[6:7]
	s_delay_alu instid0(VALU_DEP_4) | instskip(NEXT) | instid1(VALU_DEP_4)
	v_fma_f64 v[2:3], -v[17:18], v[8:9], v[21:22]
	v_fma_f64 v[8:9], -v[17:18], v[8:9], v[19:20]
	s_delay_alu instid0(VALU_DEP_4) | instskip(NEXT) | instid1(VALU_DEP_4)
	v_fma_f64 v[0:1], v[10:11], v[17:18], v[23:24]
	v_fma_f64 v[6:7], -v[10:11], v[17:18], v[6:7]
	global_load_b128 v[17:20], v[4:5], off offset:1024
	ds_store_b128 v71, v[0:3] offset:512
	;; [unrolled: 28-line block ×3, first 2 shown]
	ds_store_b128 v12, v[6:9] offset:2560
	ds_load_b128 v[0:3], v71 offset:1024
	ds_load_b128 v[6:9], v12 offset:2304
	s_wait_dscnt 0x0
	v_add_f64_e64 v[10:11], v[0:1], -v[6:7]
	v_add_f64_e32 v[21:22], v[2:3], v[8:9]
	v_add_f64_e64 v[2:3], v[2:3], -v[8:9]
	v_add_f64_e32 v[0:1], v[0:1], v[6:7]
	s_delay_alu instid0(VALU_DEP_4) | instskip(NEXT) | instid1(VALU_DEP_4)
	v_mul_f64_e32 v[8:9], 0.5, v[10:11]
	v_mul_f64_e32 v[10:11], 0.5, v[21:22]
	s_delay_alu instid0(VALU_DEP_4) | instskip(SKIP_1) | instid1(VALU_DEP_3)
	v_mul_f64_e32 v[2:3], 0.5, v[2:3]
	s_wait_loadcnt 0x1
	v_mul_f64_e32 v[6:7], v[8:9], v[19:20]
	s_delay_alu instid0(VALU_DEP_2) | instskip(SKIP_1) | instid1(VALU_DEP_3)
	v_fma_f64 v[21:22], v[10:11], v[19:20], v[2:3]
	v_fma_f64 v[19:20], v[10:11], v[19:20], -v[2:3]
	v_fma_f64 v[23:24], v[0:1], 0.5, v[6:7]
	v_fma_f64 v[6:7], v[0:1], 0.5, -v[6:7]
	s_delay_alu instid0(VALU_DEP_4) | instskip(NEXT) | instid1(VALU_DEP_4)
	v_fma_f64 v[2:3], -v[17:18], v[8:9], v[21:22]
	v_fma_f64 v[8:9], -v[17:18], v[8:9], v[19:20]
	s_delay_alu instid0(VALU_DEP_4) | instskip(NEXT) | instid1(VALU_DEP_4)
	v_fma_f64 v[0:1], v[10:11], v[17:18], v[23:24]
	v_fma_f64 v[6:7], -v[10:11], v[17:18], v[6:7]
	ds_store_b128 v71, v[0:3] offset:1024
	ds_store_b128 v12, v[6:9] offset:2304
	ds_load_b128 v[0:3], v71 offset:1280
	ds_load_b128 v[6:9], v12 offset:2048
	s_wait_dscnt 0x0
	v_add_f64_e64 v[10:11], v[0:1], -v[6:7]
	v_add_f64_e32 v[17:18], v[2:3], v[8:9]
	v_add_f64_e64 v[2:3], v[2:3], -v[8:9]
	v_add_f64_e32 v[0:1], v[0:1], v[6:7]
	s_delay_alu instid0(VALU_DEP_4) | instskip(NEXT) | instid1(VALU_DEP_4)
	v_mul_f64_e32 v[8:9], 0.5, v[10:11]
	v_mul_f64_e32 v[10:11], 0.5, v[17:18]
	s_delay_alu instid0(VALU_DEP_4) | instskip(SKIP_1) | instid1(VALU_DEP_3)
	v_mul_f64_e32 v[2:3], 0.5, v[2:3]
	s_wait_loadcnt 0x0
	v_mul_f64_e32 v[6:7], v[8:9], v[15:16]
	s_delay_alu instid0(VALU_DEP_2) | instskip(SKIP_1) | instid1(VALU_DEP_3)
	v_fma_f64 v[17:18], v[10:11], v[15:16], v[2:3]
	v_fma_f64 v[15:16], v[10:11], v[15:16], -v[2:3]
	v_fma_f64 v[19:20], v[0:1], 0.5, v[6:7]
	v_fma_f64 v[6:7], v[0:1], 0.5, -v[6:7]
	s_delay_alu instid0(VALU_DEP_4) | instskip(NEXT) | instid1(VALU_DEP_4)
	v_fma_f64 v[2:3], -v[13:14], v[8:9], v[17:18]
	v_fma_f64 v[8:9], -v[13:14], v[8:9], v[15:16]
	s_delay_alu instid0(VALU_DEP_4) | instskip(NEXT) | instid1(VALU_DEP_4)
	v_fma_f64 v[0:1], v[10:11], v[13:14], v[19:20]
	v_fma_f64 v[6:7], -v[10:11], v[13:14], v[6:7]
	v_or_b32_e32 v10, 0x60, v66
	ds_store_b128 v71, v[0:3] offset:1280
	ds_store_b128 v12, v[6:9] offset:2048
	v_cmpx_gt_u32_e32 0x68, v10
	s_cbranch_execz .LBB0_23
; %bb.22:
	global_load_b128 v[0:3], v[4:5], off offset:1536
	ds_load_b128 v[4:7], v71 offset:1536
	ds_load_b128 v[8:11], v12 offset:1792
	s_wait_dscnt 0x0
	v_add_f64_e64 v[13:14], v[4:5], -v[8:9]
	v_add_f64_e32 v[15:16], v[6:7], v[10:11]
	v_add_f64_e64 v[6:7], v[6:7], -v[10:11]
	v_add_f64_e32 v[4:5], v[4:5], v[8:9]
	s_delay_alu instid0(VALU_DEP_4) | instskip(NEXT) | instid1(VALU_DEP_4)
	v_mul_f64_e32 v[10:11], 0.5, v[13:14]
	v_mul_f64_e32 v[13:14], 0.5, v[15:16]
	s_delay_alu instid0(VALU_DEP_4) | instskip(SKIP_1) | instid1(VALU_DEP_3)
	v_mul_f64_e32 v[6:7], 0.5, v[6:7]
	s_wait_loadcnt 0x0
	v_mul_f64_e32 v[8:9], v[10:11], v[2:3]
	s_delay_alu instid0(VALU_DEP_2) | instskip(SKIP_1) | instid1(VALU_DEP_3)
	v_fma_f64 v[15:16], v[13:14], v[2:3], v[6:7]
	v_fma_f64 v[2:3], v[13:14], v[2:3], -v[6:7]
	v_fma_f64 v[6:7], v[4:5], 0.5, v[8:9]
	v_fma_f64 v[17:18], v[4:5], 0.5, -v[8:9]
	s_delay_alu instid0(VALU_DEP_4) | instskip(NEXT) | instid1(VALU_DEP_4)
	v_fma_f64 v[4:5], -v[0:1], v[10:11], v[15:16]
	v_fma_f64 v[8:9], -v[0:1], v[10:11], v[2:3]
	s_delay_alu instid0(VALU_DEP_4) | instskip(NEXT) | instid1(VALU_DEP_4)
	v_fma_f64 v[2:3], v[13:14], v[0:1], v[6:7]
	v_fma_f64 v[6:7], -v[13:14], v[0:1], v[17:18]
	ds_store_b128 v71, v[2:5] offset:1536
	ds_store_b128 v12, v[6:9] offset:1792
.LBB0_23:
	s_wait_alu 0xfffe
	s_or_b32 exec_lo, exec_lo, s1
	global_wb scope:SCOPE_SE
	s_wait_dscnt 0x0
	s_barrier_signal -1
	s_barrier_wait -1
	global_inv scope:SCOPE_SE
	s_and_saveexec_b32 s0, vcc_lo
	s_cbranch_execz .LBB0_26
; %bb.24:
	v_mul_lo_u32 v3, s3, v68
	v_mul_lo_u32 v4, s2, v69
	v_mad_co_u64_u32 v[0:1], null, s2, v68, 0
	v_mov_b32_e32 v67, 0
	v_lshlrev_b64_e32 v[11:12], 4, v[64:65]
	v_lshl_add_u32 v2, v66, 4, v70
	v_add_nc_u32_e32 v13, 16, v66
	s_delay_alu instid0(VALU_DEP_4)
	v_dual_mov_b32 v16, v67 :: v_dual_add_nc_u32 v15, 32, v66
	v_add3_u32 v1, v1, v4, v3
	v_lshlrev_b64_e32 v[17:18], 4, v[66:67]
	v_mov_b32_e32 v14, v67
	ds_load_b128 v[3:6], v2
	ds_load_b128 v[7:10], v2 offset:256
	v_lshlrev_b64_e32 v[21:22], 4, v[15:16]
	v_lshlrev_b64_e32 v[0:1], 4, v[0:1]
	v_dual_mov_b32 v26, v67 :: v_dual_add_nc_u32 v25, 48, v66
	v_lshlrev_b64_e32 v[19:20], 4, v[13:14]
	v_dual_mov_b32 v28, v67 :: v_dual_add_nc_u32 v27, 64, v66
	s_delay_alu instid0(VALU_DEP_4) | instskip(SKIP_3) | instid1(VALU_DEP_3)
	v_add_co_u32 v0, vcc_lo, s6, v0
	s_wait_alu 0xfffd
	v_add_co_ci_u32_e32 v1, vcc_lo, s7, v1, vcc_lo
	v_lshlrev_b64_e32 v[25:26], 4, v[25:26]
	v_add_co_u32 v0, vcc_lo, v0, v11
	s_wait_alu 0xfffd
	s_delay_alu instid0(VALU_DEP_3) | instskip(SKIP_1) | instid1(VALU_DEP_3)
	v_add_co_ci_u32_e32 v1, vcc_lo, v1, v12, vcc_lo
	v_add_nc_u32_e32 v31, 0xc0, v66
	v_add_co_u32 v23, vcc_lo, v0, v17
	s_wait_alu 0xfffd
	s_delay_alu instid0(VALU_DEP_3)
	v_add_co_ci_u32_e32 v24, vcc_lo, v1, v18, vcc_lo
	ds_load_b128 v[11:14], v2 offset:512
	ds_load_b128 v[15:18], v2 offset:768
	v_add_co_u32 v19, vcc_lo, v0, v19
	s_wait_alu 0xfffd
	v_add_co_ci_u32_e32 v20, vcc_lo, v1, v20, vcc_lo
	v_add_co_u32 v21, vcc_lo, v0, v21
	s_wait_alu 0xfffd
	v_add_co_ci_u32_e32 v22, vcc_lo, v1, v22, vcc_lo
	;; [unrolled: 3-line block ×3, first 2 shown]
	s_wait_dscnt 0x3
	global_store_b128 v[23:24], v[3:6], off
	s_wait_dscnt 0x2
	global_store_b128 v[19:20], v[7:10], off
	;; [unrolled: 2-line block ×4, first 2 shown]
	v_lshlrev_b64_e32 v[3:4], 4, v[27:28]
	v_dual_mov_b32 v12, v67 :: v_dual_add_nc_u32 v11, 0x50, v66
	v_dual_mov_b32 v14, v67 :: v_dual_add_nc_u32 v13, 0x60, v66
	;; [unrolled: 1-line block ×3, first 2 shown]
	s_delay_alu instid0(VALU_DEP_4)
	v_add_co_u32 v19, vcc_lo, v0, v3
	s_wait_alu 0xfffd
	v_add_co_ci_u32_e32 v20, vcc_lo, v1, v4, vcc_lo
	ds_load_b128 v[3:6], v2 offset:1024
	ds_load_b128 v[7:10], v2 offset:1280
	v_lshlrev_b64_e32 v[21:22], 4, v[11:12]
	v_lshlrev_b64_e32 v[23:24], 4, v[13:14]
	ds_load_b128 v[11:14], v2 offset:1536
	ds_load_b128 v[15:18], v2 offset:1792
	v_lshlrev_b64_e32 v[25:26], 4, v[25:26]
	v_dual_mov_b32 v32, v67 :: v_dual_add_nc_u32 v27, 0x80, v66
	v_add_co_u32 v21, vcc_lo, v0, v21
	s_wait_alu 0xfffd
	v_add_co_ci_u32_e32 v22, vcc_lo, v1, v22, vcc_lo
	v_add_co_u32 v23, vcc_lo, v0, v23
	s_wait_alu 0xfffd
	v_add_co_ci_u32_e32 v24, vcc_lo, v1, v24, vcc_lo
	;; [unrolled: 3-line block ×3, first 2 shown]
	s_wait_dscnt 0x3
	global_store_b128 v[19:20], v[3:6], off
	s_wait_dscnt 0x2
	global_store_b128 v[21:22], v[7:10], off
	;; [unrolled: 2-line block ×4, first 2 shown]
	v_dual_mov_b32 v12, v67 :: v_dual_add_nc_u32 v11, 0x90, v66
	v_mov_b32_e32 v14, v67
	v_lshlrev_b64_e32 v[3:4], 4, v[27:28]
	v_dual_mov_b32 v20, v67 :: v_dual_add_nc_u32 v13, 0xa0, v66
	s_delay_alu instid0(VALU_DEP_4)
	v_lshlrev_b64_e32 v[11:12], 4, v[11:12]
	v_add_nc_u32_e32 v19, 0xb0, v66
	v_lshlrev_b64_e32 v[31:32], 4, v[31:32]
	v_add_co_u32 v23, vcc_lo, v0, v3
	s_wait_alu 0xfffd
	v_add_co_ci_u32_e32 v24, vcc_lo, v1, v4, vcc_lo
	v_add_co_u32 v25, vcc_lo, v0, v11
	ds_load_b128 v[3:6], v2 offset:2048
	ds_load_b128 v[7:10], v2 offset:2304
	s_wait_alu 0xfffd
	v_add_co_ci_u32_e32 v26, vcc_lo, v1, v12, vcc_lo
	v_lshlrev_b64_e32 v[27:28], 4, v[13:14]
	ds_load_b128 v[11:14], v2 offset:2560
	ds_load_b128 v[15:18], v2 offset:2816
	v_lshlrev_b64_e32 v[29:30], 4, v[19:20]
	ds_load_b128 v[19:22], v2 offset:3072
	v_add_co_u32 v27, vcc_lo, v0, v27
	s_wait_alu 0xfffd
	v_add_co_ci_u32_e32 v28, vcc_lo, v1, v28, vcc_lo
	v_add_co_u32 v29, vcc_lo, v0, v29
	s_wait_alu 0xfffd
	v_add_co_ci_u32_e32 v30, vcc_lo, v1, v30, vcc_lo
	;; [unrolled: 3-line block ×3, first 2 shown]
	v_cmp_eq_u32_e32 vcc_lo, 15, v66
	s_wait_dscnt 0x4
	global_store_b128 v[23:24], v[3:6], off
	s_wait_dscnt 0x3
	global_store_b128 v[25:26], v[7:10], off
	;; [unrolled: 2-line block ×5, first 2 shown]
	s_and_b32 exec_lo, exec_lo, vcc_lo
	s_cbranch_execz .LBB0_26
; %bb.25:
	ds_load_b128 v[2:5], v2 offset:3088
	s_wait_dscnt 0x0
	global_store_b128 v[0:1], v[2:5], off offset:3328
.LBB0_26:
	s_nop 0
	s_sendmsg sendmsg(MSG_DEALLOC_VGPRS)
	s_endpgm
	.section	.rodata,"a",@progbits
	.p2align	6, 0x0
	.amdhsa_kernel fft_rtc_back_len208_factors_13_16_wgs_64_tpt_16_halfLds_dp_op_CI_CI_unitstride_sbrr_R2C_dirReg
		.amdhsa_group_segment_fixed_size 0
		.amdhsa_private_segment_fixed_size 0
		.amdhsa_kernarg_size 104
		.amdhsa_user_sgpr_count 2
		.amdhsa_user_sgpr_dispatch_ptr 0
		.amdhsa_user_sgpr_queue_ptr 0
		.amdhsa_user_sgpr_kernarg_segment_ptr 1
		.amdhsa_user_sgpr_dispatch_id 0
		.amdhsa_user_sgpr_private_segment_size 0
		.amdhsa_wavefront_size32 1
		.amdhsa_uses_dynamic_stack 0
		.amdhsa_enable_private_segment 0
		.amdhsa_system_sgpr_workgroup_id_x 1
		.amdhsa_system_sgpr_workgroup_id_y 0
		.amdhsa_system_sgpr_workgroup_id_z 0
		.amdhsa_system_sgpr_workgroup_info 0
		.amdhsa_system_vgpr_workitem_id 0
		.amdhsa_next_free_vgpr 243
		.amdhsa_next_free_sgpr 44
		.amdhsa_reserve_vcc 1
		.amdhsa_float_round_mode_32 0
		.amdhsa_float_round_mode_16_64 0
		.amdhsa_float_denorm_mode_32 3
		.amdhsa_float_denorm_mode_16_64 3
		.amdhsa_fp16_overflow 0
		.amdhsa_workgroup_processor_mode 1
		.amdhsa_memory_ordered 1
		.amdhsa_forward_progress 0
		.amdhsa_round_robin_scheduling 0
		.amdhsa_exception_fp_ieee_invalid_op 0
		.amdhsa_exception_fp_denorm_src 0
		.amdhsa_exception_fp_ieee_div_zero 0
		.amdhsa_exception_fp_ieee_overflow 0
		.amdhsa_exception_fp_ieee_underflow 0
		.amdhsa_exception_fp_ieee_inexact 0
		.amdhsa_exception_int_div_zero 0
	.end_amdhsa_kernel
	.text
.Lfunc_end0:
	.size	fft_rtc_back_len208_factors_13_16_wgs_64_tpt_16_halfLds_dp_op_CI_CI_unitstride_sbrr_R2C_dirReg, .Lfunc_end0-fft_rtc_back_len208_factors_13_16_wgs_64_tpt_16_halfLds_dp_op_CI_CI_unitstride_sbrr_R2C_dirReg
                                        ; -- End function
	.section	.AMDGPU.csdata,"",@progbits
; Kernel info:
; codeLenInByte = 9352
; NumSgprs: 46
; NumVgprs: 243
; ScratchSize: 0
; MemoryBound: 0
; FloatMode: 240
; IeeeMode: 1
; LDSByteSize: 0 bytes/workgroup (compile time only)
; SGPRBlocks: 5
; VGPRBlocks: 30
; NumSGPRsForWavesPerEU: 46
; NumVGPRsForWavesPerEU: 243
; Occupancy: 5
; WaveLimiterHint : 1
; COMPUTE_PGM_RSRC2:SCRATCH_EN: 0
; COMPUTE_PGM_RSRC2:USER_SGPR: 2
; COMPUTE_PGM_RSRC2:TRAP_HANDLER: 0
; COMPUTE_PGM_RSRC2:TGID_X_EN: 1
; COMPUTE_PGM_RSRC2:TGID_Y_EN: 0
; COMPUTE_PGM_RSRC2:TGID_Z_EN: 0
; COMPUTE_PGM_RSRC2:TIDIG_COMP_CNT: 0
	.text
	.p2alignl 7, 3214868480
	.fill 96, 4, 3214868480
	.type	__hip_cuid_24de97534a058993,@object ; @__hip_cuid_24de97534a058993
	.section	.bss,"aw",@nobits
	.globl	__hip_cuid_24de97534a058993
__hip_cuid_24de97534a058993:
	.byte	0                               ; 0x0
	.size	__hip_cuid_24de97534a058993, 1

	.ident	"AMD clang version 19.0.0git (https://github.com/RadeonOpenCompute/llvm-project roc-6.4.0 25133 c7fe45cf4b819c5991fe208aaa96edf142730f1d)"
	.section	".note.GNU-stack","",@progbits
	.addrsig
	.addrsig_sym __hip_cuid_24de97534a058993
	.amdgpu_metadata
---
amdhsa.kernels:
  - .args:
      - .actual_access:  read_only
        .address_space:  global
        .offset:         0
        .size:           8
        .value_kind:     global_buffer
      - .offset:         8
        .size:           8
        .value_kind:     by_value
      - .actual_access:  read_only
        .address_space:  global
        .offset:         16
        .size:           8
        .value_kind:     global_buffer
      - .actual_access:  read_only
        .address_space:  global
        .offset:         24
        .size:           8
        .value_kind:     global_buffer
      - .actual_access:  read_only
        .address_space:  global
        .offset:         32
        .size:           8
        .value_kind:     global_buffer
      - .offset:         40
        .size:           8
        .value_kind:     by_value
      - .actual_access:  read_only
        .address_space:  global
        .offset:         48
        .size:           8
        .value_kind:     global_buffer
      - .actual_access:  read_only
        .address_space:  global
        .offset:         56
        .size:           8
        .value_kind:     global_buffer
      - .offset:         64
        .size:           4
        .value_kind:     by_value
      - .actual_access:  read_only
        .address_space:  global
        .offset:         72
        .size:           8
        .value_kind:     global_buffer
      - .actual_access:  read_only
        .address_space:  global
        .offset:         80
        .size:           8
        .value_kind:     global_buffer
      - .actual_access:  read_only
        .address_space:  global
        .offset:         88
        .size:           8
        .value_kind:     global_buffer
      - .actual_access:  write_only
        .address_space:  global
        .offset:         96
        .size:           8
        .value_kind:     global_buffer
    .group_segment_fixed_size: 0
    .kernarg_segment_align: 8
    .kernarg_segment_size: 104
    .language:       OpenCL C
    .language_version:
      - 2
      - 0
    .max_flat_workgroup_size: 64
    .name:           fft_rtc_back_len208_factors_13_16_wgs_64_tpt_16_halfLds_dp_op_CI_CI_unitstride_sbrr_R2C_dirReg
    .private_segment_fixed_size: 0
    .sgpr_count:     46
    .sgpr_spill_count: 0
    .symbol:         fft_rtc_back_len208_factors_13_16_wgs_64_tpt_16_halfLds_dp_op_CI_CI_unitstride_sbrr_R2C_dirReg.kd
    .uniform_work_group_size: 1
    .uses_dynamic_stack: false
    .vgpr_count:     243
    .vgpr_spill_count: 0
    .wavefront_size: 32
    .workgroup_processor_mode: 1
amdhsa.target:   amdgcn-amd-amdhsa--gfx1201
amdhsa.version:
  - 1
  - 2
...

	.end_amdgpu_metadata
